;; amdgpu-corpus repo=ROCm/rocFFT kind=compiled arch=gfx1030 opt=O3
	.text
	.amdgcn_target "amdgcn-amd-amdhsa--gfx1030"
	.amdhsa_code_object_version 6
	.protected	fft_rtc_back_len756_factors_2_2_3_3_3_7_wgs_63_tpt_63_dp_op_CI_CI_unitstride_sbrr_R2C_dirReg ; -- Begin function fft_rtc_back_len756_factors_2_2_3_3_3_7_wgs_63_tpt_63_dp_op_CI_CI_unitstride_sbrr_R2C_dirReg
	.globl	fft_rtc_back_len756_factors_2_2_3_3_3_7_wgs_63_tpt_63_dp_op_CI_CI_unitstride_sbrr_R2C_dirReg
	.p2align	8
	.type	fft_rtc_back_len756_factors_2_2_3_3_3_7_wgs_63_tpt_63_dp_op_CI_CI_unitstride_sbrr_R2C_dirReg,@function
fft_rtc_back_len756_factors_2_2_3_3_3_7_wgs_63_tpt_63_dp_op_CI_CI_unitstride_sbrr_R2C_dirReg: ; @fft_rtc_back_len756_factors_2_2_3_3_3_7_wgs_63_tpt_63_dp_op_CI_CI_unitstride_sbrr_R2C_dirReg
; %bb.0:
	s_clause 0x2
	s_load_dwordx4 s[12:15], s[4:5], 0x0
	s_load_dwordx4 s[8:11], s[4:5], 0x58
	;; [unrolled: 1-line block ×3, first 2 shown]
	v_mul_u32_u24_e32 v1, 0x411, v0
	v_mov_b32_e32 v3, 0
	v_add_nc_u32_sdwa v5, s6, v1 dst_sel:DWORD dst_unused:UNUSED_PAD src0_sel:DWORD src1_sel:WORD_1
	v_mov_b32_e32 v1, 0
	v_mov_b32_e32 v6, v3
	v_mov_b32_e32 v2, 0
	s_waitcnt lgkmcnt(0)
	v_cmp_lt_u64_e64 s0, s[14:15], 2
	s_and_b32 vcc_lo, exec_lo, s0
	s_cbranch_vccnz .LBB0_8
; %bb.1:
	s_load_dwordx2 s[0:1], s[4:5], 0x10
	v_mov_b32_e32 v1, 0
	v_mov_b32_e32 v2, 0
	s_add_u32 s2, s18, 8
	s_addc_u32 s3, s19, 0
	s_add_u32 s6, s16, 8
	s_addc_u32 s7, s17, 0
	v_mov_b32_e32 v57, v2
	v_mov_b32_e32 v56, v1
	s_mov_b64 s[22:23], 1
	s_waitcnt lgkmcnt(0)
	s_add_u32 s20, s0, 8
	s_addc_u32 s21, s1, 0
.LBB0_2:                                ; =>This Inner Loop Header: Depth=1
	s_load_dwordx2 s[24:25], s[20:21], 0x0
                                        ; implicit-def: $vgpr60_vgpr61
	s_mov_b32 s0, exec_lo
	s_waitcnt lgkmcnt(0)
	v_or_b32_e32 v4, s25, v6
	v_cmpx_ne_u64_e32 0, v[3:4]
	s_xor_b32 s1, exec_lo, s0
	s_cbranch_execz .LBB0_4
; %bb.3:                                ;   in Loop: Header=BB0_2 Depth=1
	v_cvt_f32_u32_e32 v4, s24
	v_cvt_f32_u32_e32 v7, s25
	s_sub_u32 s0, 0, s24
	s_subb_u32 s26, 0, s25
	v_fmac_f32_e32 v4, 0x4f800000, v7
	v_rcp_f32_e32 v4, v4
	v_mul_f32_e32 v4, 0x5f7ffffc, v4
	v_mul_f32_e32 v7, 0x2f800000, v4
	v_trunc_f32_e32 v7, v7
	v_fmac_f32_e32 v4, 0xcf800000, v7
	v_cvt_u32_f32_e32 v7, v7
	v_cvt_u32_f32_e32 v4, v4
	v_mul_lo_u32 v8, s0, v7
	v_mul_hi_u32 v9, s0, v4
	v_mul_lo_u32 v10, s26, v4
	v_add_nc_u32_e32 v8, v9, v8
	v_mul_lo_u32 v9, s0, v4
	v_add_nc_u32_e32 v8, v8, v10
	v_mul_hi_u32 v10, v4, v9
	v_mul_lo_u32 v11, v4, v8
	v_mul_hi_u32 v12, v4, v8
	v_mul_hi_u32 v13, v7, v9
	v_mul_lo_u32 v9, v7, v9
	v_mul_hi_u32 v14, v7, v8
	v_mul_lo_u32 v8, v7, v8
	v_add_co_u32 v10, vcc_lo, v10, v11
	v_add_co_ci_u32_e32 v11, vcc_lo, 0, v12, vcc_lo
	v_add_co_u32 v9, vcc_lo, v10, v9
	v_add_co_ci_u32_e32 v9, vcc_lo, v11, v13, vcc_lo
	v_add_co_ci_u32_e32 v10, vcc_lo, 0, v14, vcc_lo
	v_add_co_u32 v8, vcc_lo, v9, v8
	v_add_co_ci_u32_e32 v9, vcc_lo, 0, v10, vcc_lo
	v_add_co_u32 v4, vcc_lo, v4, v8
	v_add_co_ci_u32_e32 v7, vcc_lo, v7, v9, vcc_lo
	v_mul_hi_u32 v8, s0, v4
	v_mul_lo_u32 v10, s26, v4
	v_mul_lo_u32 v9, s0, v7
	v_add_nc_u32_e32 v8, v8, v9
	v_mul_lo_u32 v9, s0, v4
	v_add_nc_u32_e32 v8, v8, v10
	v_mul_hi_u32 v10, v4, v9
	v_mul_lo_u32 v11, v4, v8
	v_mul_hi_u32 v12, v4, v8
	v_mul_hi_u32 v13, v7, v9
	v_mul_lo_u32 v9, v7, v9
	v_mul_hi_u32 v14, v7, v8
	v_mul_lo_u32 v8, v7, v8
	v_add_co_u32 v10, vcc_lo, v10, v11
	v_add_co_ci_u32_e32 v11, vcc_lo, 0, v12, vcc_lo
	v_add_co_u32 v9, vcc_lo, v10, v9
	v_add_co_ci_u32_e32 v9, vcc_lo, v11, v13, vcc_lo
	v_add_co_ci_u32_e32 v10, vcc_lo, 0, v14, vcc_lo
	v_add_co_u32 v8, vcc_lo, v9, v8
	v_add_co_ci_u32_e32 v9, vcc_lo, 0, v10, vcc_lo
	v_add_co_u32 v4, vcc_lo, v4, v8
	v_add_co_ci_u32_e32 v11, vcc_lo, v7, v9, vcc_lo
	v_mul_hi_u32 v13, v5, v4
	v_mad_u64_u32 v[9:10], null, v6, v4, 0
	v_mad_u64_u32 v[7:8], null, v5, v11, 0
	;; [unrolled: 1-line block ×3, first 2 shown]
	v_add_co_u32 v4, vcc_lo, v13, v7
	v_add_co_ci_u32_e32 v7, vcc_lo, 0, v8, vcc_lo
	v_add_co_u32 v4, vcc_lo, v4, v9
	v_add_co_ci_u32_e32 v4, vcc_lo, v7, v10, vcc_lo
	v_add_co_ci_u32_e32 v7, vcc_lo, 0, v12, vcc_lo
	v_add_co_u32 v4, vcc_lo, v4, v11
	v_add_co_ci_u32_e32 v9, vcc_lo, 0, v7, vcc_lo
	v_mul_lo_u32 v10, s25, v4
	v_mad_u64_u32 v[7:8], null, s24, v4, 0
	v_mul_lo_u32 v11, s24, v9
	v_sub_co_u32 v7, vcc_lo, v5, v7
	v_add3_u32 v8, v8, v11, v10
	v_sub_nc_u32_e32 v10, v6, v8
	v_subrev_co_ci_u32_e64 v10, s0, s25, v10, vcc_lo
	v_add_co_u32 v11, s0, v4, 2
	v_add_co_ci_u32_e64 v12, s0, 0, v9, s0
	v_sub_co_u32 v13, s0, v7, s24
	v_sub_co_ci_u32_e32 v8, vcc_lo, v6, v8, vcc_lo
	v_subrev_co_ci_u32_e64 v10, s0, 0, v10, s0
	v_cmp_le_u32_e32 vcc_lo, s24, v13
	v_cmp_eq_u32_e64 s0, s25, v8
	v_cndmask_b32_e64 v13, 0, -1, vcc_lo
	v_cmp_le_u32_e32 vcc_lo, s25, v10
	v_cndmask_b32_e64 v14, 0, -1, vcc_lo
	v_cmp_le_u32_e32 vcc_lo, s24, v7
	;; [unrolled: 2-line block ×3, first 2 shown]
	v_cndmask_b32_e64 v15, 0, -1, vcc_lo
	v_cmp_eq_u32_e32 vcc_lo, s25, v10
	v_cndmask_b32_e64 v7, v15, v7, s0
	v_cndmask_b32_e32 v10, v14, v13, vcc_lo
	v_add_co_u32 v13, vcc_lo, v4, 1
	v_add_co_ci_u32_e32 v14, vcc_lo, 0, v9, vcc_lo
	v_cmp_ne_u32_e32 vcc_lo, 0, v10
	v_cndmask_b32_e32 v8, v14, v12, vcc_lo
	v_cndmask_b32_e32 v10, v13, v11, vcc_lo
	v_cmp_ne_u32_e32 vcc_lo, 0, v7
	v_cndmask_b32_e32 v61, v9, v8, vcc_lo
	v_cndmask_b32_e32 v60, v4, v10, vcc_lo
.LBB0_4:                                ;   in Loop: Header=BB0_2 Depth=1
	s_andn2_saveexec_b32 s0, s1
	s_cbranch_execz .LBB0_6
; %bb.5:                                ;   in Loop: Header=BB0_2 Depth=1
	v_cvt_f32_u32_e32 v4, s24
	s_sub_i32 s1, 0, s24
	v_mov_b32_e32 v61, v3
	v_rcp_iflag_f32_e32 v4, v4
	v_mul_f32_e32 v4, 0x4f7ffffe, v4
	v_cvt_u32_f32_e32 v4, v4
	v_mul_lo_u32 v7, s1, v4
	v_mul_hi_u32 v7, v4, v7
	v_add_nc_u32_e32 v4, v4, v7
	v_mul_hi_u32 v4, v5, v4
	v_mul_lo_u32 v7, v4, s24
	v_add_nc_u32_e32 v8, 1, v4
	v_sub_nc_u32_e32 v7, v5, v7
	v_subrev_nc_u32_e32 v9, s24, v7
	v_cmp_le_u32_e32 vcc_lo, s24, v7
	v_cndmask_b32_e32 v7, v7, v9, vcc_lo
	v_cndmask_b32_e32 v4, v4, v8, vcc_lo
	v_cmp_le_u32_e32 vcc_lo, s24, v7
	v_add_nc_u32_e32 v8, 1, v4
	v_cndmask_b32_e32 v60, v4, v8, vcc_lo
.LBB0_6:                                ;   in Loop: Header=BB0_2 Depth=1
	s_or_b32 exec_lo, exec_lo, s0
	v_mul_lo_u32 v4, v61, s24
	v_mul_lo_u32 v9, v60, s25
	s_load_dwordx2 s[0:1], s[6:7], 0x0
	v_mad_u64_u32 v[7:8], null, v60, s24, 0
	s_load_dwordx2 s[24:25], s[2:3], 0x0
	s_add_u32 s22, s22, 1
	s_addc_u32 s23, s23, 0
	s_add_u32 s2, s2, 8
	s_addc_u32 s3, s3, 0
	s_add_u32 s6, s6, 8
	v_add3_u32 v4, v8, v9, v4
	v_sub_co_u32 v5, vcc_lo, v5, v7
	s_addc_u32 s7, s7, 0
	s_add_u32 s20, s20, 8
	v_sub_co_ci_u32_e32 v4, vcc_lo, v6, v4, vcc_lo
	s_addc_u32 s21, s21, 0
	s_waitcnt lgkmcnt(0)
	v_mul_lo_u32 v6, s0, v4
	v_mul_lo_u32 v7, s1, v5
	v_mad_u64_u32 v[1:2], null, s0, v5, v[1:2]
	v_mul_lo_u32 v4, s24, v4
	v_mul_lo_u32 v8, s25, v5
	v_mad_u64_u32 v[56:57], null, s24, v5, v[56:57]
	v_cmp_ge_u64_e64 s0, s[22:23], s[14:15]
	v_add3_u32 v2, v7, v2, v6
	v_add3_u32 v57, v8, v57, v4
	s_and_b32 vcc_lo, exec_lo, s0
	s_cbranch_vccnz .LBB0_9
; %bb.7:                                ;   in Loop: Header=BB0_2 Depth=1
	v_mov_b32_e32 v5, v60
	v_mov_b32_e32 v6, v61
	s_branch .LBB0_2
.LBB0_8:
	v_mov_b32_e32 v57, v2
	v_mov_b32_e32 v61, v6
	;; [unrolled: 1-line block ×4, first 2 shown]
.LBB0_9:
	s_load_dwordx2 s[0:1], s[4:5], 0x28
	v_mul_hi_u32 v3, 0x4104105, v0
	s_lshl_b64 s[4:5], s[14:15], 3
                                        ; implicit-def: $vgpr58
                                        ; implicit-def: $vgpr62
                                        ; implicit-def: $vgpr67
                                        ; implicit-def: $vgpr66
                                        ; implicit-def: $vgpr65
                                        ; implicit-def: $vgpr64
	s_add_u32 s2, s18, s4
	s_addc_u32 s3, s19, s5
	s_waitcnt lgkmcnt(0)
	v_cmp_gt_u64_e32 vcc_lo, s[0:1], v[60:61]
	v_cmp_le_u64_e64 s0, s[0:1], v[60:61]
	s_and_saveexec_b32 s1, s0
	s_xor_b32 s0, exec_lo, s1
; %bb.10:
	v_mul_u32_u24_e32 v1, 63, v3
                                        ; implicit-def: $vgpr3
	v_sub_nc_u32_e32 v58, v0, v1
                                        ; implicit-def: $vgpr0
                                        ; implicit-def: $vgpr1_vgpr2
	v_add_nc_u32_e32 v62, 63, v58
	v_add_nc_u32_e32 v67, 0x7e, v58
	;; [unrolled: 1-line block ×5, first 2 shown]
; %bb.11:
	s_andn2_saveexec_b32 s1, s0
	s_cbranch_execz .LBB0_13
; %bb.12:
	s_add_u32 s4, s16, s4
	s_addc_u32 s5, s17, s5
	v_lshlrev_b64 v[1:2], 4, v[1:2]
	s_load_dwordx2 s[4:5], s[4:5], 0x0
	s_waitcnt lgkmcnt(0)
	v_mul_lo_u32 v6, s5, v60
	v_mul_lo_u32 v7, s4, v61
	v_mad_u64_u32 v[4:5], null, s4, v60, 0
	v_add3_u32 v5, v5, v7, v6
	v_mul_u32_u24_e32 v6, 63, v3
	v_lshlrev_b64 v[3:4], 4, v[4:5]
	v_sub_nc_u32_e32 v58, v0, v6
	v_lshlrev_b32_e32 v48, 4, v58
	v_add_co_u32 v0, s0, s8, v3
	v_add_co_ci_u32_e64 v3, s0, s9, v4, s0
	v_add_nc_u32_e32 v62, 63, v58
	v_add_co_u32 v0, s0, v0, v1
	v_add_co_ci_u32_e64 v1, s0, v3, v2, s0
	v_add_nc_u32_e32 v67, 0x7e, v58
	v_add_co_u32 v8, s0, v0, v48
	v_add_co_ci_u32_e64 v9, s0, 0, v1, s0
	s_clause 0x1
	global_load_dwordx4 v[0:3], v[8:9], off
	global_load_dwordx4 v[4:7], v[8:9], off offset:1008
	v_add_co_u32 v16, s0, 0x800, v8
	v_add_co_ci_u32_e64 v17, s0, 0, v9, s0
	v_add_co_u32 v24, s0, 0x1000, v8
	v_add_co_ci_u32_e64 v25, s0, 0, v9, s0
	;; [unrolled: 2-line block ×5, first 2 shown]
	s_clause 0x9
	global_load_dwordx4 v[8:11], v[8:9], off offset:2016
	global_load_dwordx4 v[12:15], v[16:17], off offset:976
	;; [unrolled: 1-line block ×10, first 2 shown]
	v_add_nc_u32_e32 v48, 0, v48
	v_add_nc_u32_e32 v66, 0xbd, v58
	;; [unrolled: 1-line block ×4, first 2 shown]
	s_waitcnt vmcnt(11)
	ds_write_b128 v48, v[0:3]
	s_waitcnt vmcnt(10)
	ds_write_b128 v48, v[4:7] offset:1008
	s_waitcnt vmcnt(9)
	ds_write_b128 v48, v[8:11] offset:2016
	;; [unrolled: 2-line block ×11, first 2 shown]
.LBB0_13:
	s_or_b32 exec_lo, exec_lo, s1
	v_lshlrev_b32_e32 v59, 4, v58
	s_load_dwordx2 s[2:3], s[2:3], 0x0
	s_waitcnt lgkmcnt(0)
	s_barrier
	buffer_gl0_inv
	v_add_nc_u32_e32 v69, 0, v59
	v_and_b32_e32 v104, 1, v58
	v_lshl_add_u32 v76, v62, 5, 0
	v_and_b32_e32 v105, 1, v66
	v_lshl_add_u32 v71, v67, 5, 0
	ds_read_b128 v[0:3], v69 offset:6048
	ds_read_b128 v[4:7], v69
	ds_read_b128 v[8:11], v69 offset:1008
	ds_read_b128 v[12:15], v69 offset:7056
	;; [unrolled: 1-line block ×10, first 2 shown]
	v_and_b32_e32 v106, 1, v64
	v_lshl_add_u32 v70, v66, 5, 0
	v_lshl_add_u32 v73, v65, 5, 0
	;; [unrolled: 1-line block ×3, first 2 shown]
	s_waitcnt lgkmcnt(0)
	s_barrier
	buffer_gl0_inv
	v_lshlrev_b32_e32 v77, 4, v62
	v_lshlrev_b32_e32 v74, 4, v65
	v_add_f64 v[48:49], v[4:5], -v[0:1]
	v_add_f64 v[50:51], v[6:7], -v[2:3]
	;; [unrolled: 1-line block ×12, first 2 shown]
	v_and_b32_e32 v0, 1, v62
	v_lshlrev_b32_e32 v63, 4, v67
	v_lshlrev_b32_e32 v68, 4, v66
	;; [unrolled: 1-line block ×3, first 2 shown]
	v_lshrrev_b32_e32 v115, 2, v67
	v_lshrrev_b32_e32 v113, 2, v62
	v_and_b32_e32 v114, 0xff, v58
	s_mov_b32 s4, 0xe8584caa
	s_mov_b32 s5, 0xbfebb67a
	;; [unrolled: 1-line block ×3, first 2 shown]
	v_fma_f64 v[1:2], v[4:5], 2.0, -v[48:49]
	v_fma_f64 v[3:4], v[6:7], 2.0, -v[50:51]
	;; [unrolled: 1-line block ×12, first 2 shown]
	v_add_nc_u32_e32 v10, v69, v59
	v_lshlrev_b32_e32 v11, 4, v104
	v_lshlrev_b32_e32 v9, 4, v0
	s_mov_b32 s6, s4
	v_cmp_gt_u32_e64 s0, 36, v58
	ds_write_b128 v10, v[48:51] offset:16
	ds_write_b128 v76, v[12:15] offset:16
	;; [unrolled: 1-line block ×6, first 2 shown]
	ds_write_b128 v10, v[1:4]
	ds_write_b128 v76, v[5:8]
	;; [unrolled: 1-line block ×6, first 2 shown]
	s_waitcnt lgkmcnt(0)
	s_barrier
	buffer_gl0_inv
	s_clause 0x1
	global_load_dwordx4 v[1:4], v11, s[12:13]
	global_load_dwordx4 v[5:8], v9, s[12:13]
	v_lshlrev_b32_e32 v10, 4, v105
	v_lshlrev_b32_e32 v13, 4, v106
	s_clause 0x1
	global_load_dwordx4 v[9:12], v10, s[12:13]
	global_load_dwordx4 v[13:16], v13, s[12:13]
	ds_read_b128 v[17:20], v69 offset:6048
	ds_read_b128 v[21:24], v69 offset:7056
	;; [unrolled: 1-line block ×6, first 2 shown]
	v_sub_nc_u32_e32 v48, v76, v77
	v_sub_nc_u32_e32 v51, v73, v74
	;; [unrolled: 1-line block ×3, first 2 shown]
	ds_read_b128 v[41:44], v69
	ds_read_b128 v[78:81], v48
	v_sub_nc_u32_e32 v50, v70, v68
	v_sub_nc_u32_e32 v47, v72, v75
	ds_read_b128 v[82:85], v51
	ds_read_b128 v[86:89], v49
	;; [unrolled: 1-line block ×3, first 2 shown]
	s_waitcnt vmcnt(3) lgkmcnt(10)
	v_mul_f64 v[45:46], v[19:20], v[3:4]
	v_mul_f64 v[52:53], v[17:18], v[3:4]
	s_waitcnt vmcnt(2) lgkmcnt(9)
	v_mul_f64 v[54:55], v[23:24], v[7:8]
	v_mul_f64 v[7:8], v[21:22], v[7:8]
	s_waitcnt lgkmcnt(8)
	v_mul_f64 v[94:95], v[27:28], v[3:4]
	v_mul_f64 v[96:97], v[25:26], v[3:4]
	s_waitcnt vmcnt(1) lgkmcnt(7)
	v_mul_f64 v[98:99], v[31:32], v[11:12]
	v_mul_f64 v[11:12], v[29:30], v[11:12]
	s_waitcnt lgkmcnt(6)
	v_mul_f64 v[100:101], v[35:36], v[3:4]
	v_mul_f64 v[3:4], v[33:34], v[3:4]
	s_waitcnt vmcnt(0) lgkmcnt(5)
	v_mul_f64 v[102:103], v[39:40], v[15:16]
	v_mul_f64 v[15:16], v[37:38], v[15:16]
	v_fma_f64 v[17:18], v[17:18], v[1:2], v[45:46]
	v_fma_f64 v[19:20], v[19:20], v[1:2], -v[52:53]
	v_fma_f64 v[21:22], v[21:22], v[5:6], v[54:55]
	v_fma_f64 v[23:24], v[23:24], v[5:6], -v[7:8]
	;; [unrolled: 2-line block ×6, first 2 shown]
	ds_read_b128 v[1:4], v47
	v_lshlrev_b32_e32 v46, 1, v62
	v_lshlrev_b32_e32 v45, 1, v58
	;; [unrolled: 1-line block ×4, first 2 shown]
	v_and_b32_e32 v53, 3, v58
	v_and_or_b32 v46, 0xfc, v46, v0
	v_and_or_b32 v45, 0x7c, v45, v104
	;; [unrolled: 1-line block ×3, first 2 shown]
	v_and_b32_e32 v54, 3, v62
	s_waitcnt lgkmcnt(5)
	v_add_f64 v[5:6], v[41:42], -v[17:18]
	v_add_f64 v[7:8], v[43:44], -v[19:20]
	s_waitcnt lgkmcnt(4)
	v_add_f64 v[9:10], v[78:79], -v[21:22]
	v_add_f64 v[11:12], v[80:81], -v[23:24]
	;; [unrolled: 3-line block ×4, first 2 shown]
	v_add_f64 v[21:22], v[82:83], -v[33:34]
	v_add_f64 v[23:24], v[84:85], -v[35:36]
	s_waitcnt lgkmcnt(0)
	v_add_f64 v[25:26], v[1:2], -v[37:38]
	v_add_f64 v[27:28], v[3:4], -v[39:40]
	v_lshlrev_b32_e32 v29, 1, v66
	v_lshlrev_b32_e32 v30, 1, v65
	v_lshl_add_u32 v45, v45, 4, 0
	v_lshl_add_u32 v46, v46, 4, 0
	;; [unrolled: 1-line block ×3, first 2 shown]
	v_and_or_b32 v55, 0x1fc, v29, v105
	v_and_or_b32 v94, 0x3fc, v30, v104
	s_barrier
	buffer_gl0_inv
	v_fma_f64 v[29:30], v[41:42], 2.0, -v[5:6]
	v_fma_f64 v[31:32], v[43:44], 2.0, -v[7:8]
	;; [unrolled: 1-line block ×12, first 2 shown]
	v_and_or_b32 v4, 0x2fc, v52, v106
	v_lshlrev_b32_e32 v52, 5, v53
	v_lshl_add_u32 v55, v55, 4, 0
	v_lshl_add_u32 v82, v94, 4, 0
	;; [unrolled: 1-line block ×3, first 2 shown]
	ds_write_b128 v45, v[5:8] offset:32
	ds_write_b128 v45, v[29:32]
	ds_write_b128 v46, v[33:36]
	ds_write_b128 v46, v[9:12] offset:32
	ds_write_b128 v47, v[37:40]
	ds_write_b128 v47, v[13:16] offset:32
	ds_write_b128 v55, v[41:44]
	ds_write_b128 v55, v[17:20] offset:32
	ds_write_b128 v82, v[78:81]
	ds_write_b128 v82, v[21:24] offset:32
	ds_write_b128 v4, v[0:3]
	ds_write_b128 v4, v[25:28] offset:32
	s_waitcnt lgkmcnt(0)
	s_barrier
	buffer_gl0_inv
	global_load_dwordx4 v[83:86], v52, s[12:13] offset:32
	v_lshlrev_b32_e32 v0, 5, v54
	s_clause 0x1
	global_load_dwordx4 v[87:90], v52, s[12:13] offset:48
	global_load_dwordx4 v[91:94], v0, s[12:13] offset:32
	v_and_b32_e32 v81, 3, v67
	v_and_b32_e32 v82, 3, v66
	v_lshrrev_b32_e32 v80, 2, v58
	v_and_b32_e32 v55, 0xff, v67
	v_mov_b32_e32 v52, 5
	v_lshlrev_b32_e32 v1, 5, v81
	s_clause 0x1
	global_load_dwordx4 v[12:15], v0, s[12:13] offset:48
	global_load_dwordx4 v[4:7], v1, s[12:13] offset:32
	v_lshlrev_b32_e32 v0, 5, v82
	s_clause 0x2
	global_load_dwordx4 v[8:11], v1, s[12:13] offset:48
	global_load_dwordx4 v[16:19], v0, s[12:13] offset:32
	;; [unrolled: 1-line block ×3, first 2 shown]
	ds_read_b128 v[95:98], v51
	ds_read_b128 v[99:102], v69 offset:8064
	ds_read_b128 v[103:106], v69 offset:5040
	ds_read_b128 v[0:3], v50
	ds_read_b128 v[28:31], v69 offset:9072
	ds_read_b128 v[32:35], v69 offset:6048
	;; [unrolled: 1-line block ×5, first 2 shown]
	ds_read_b128 v[20:23], v69
	v_mul_u32_u24_e32 v80, 12, v80
	v_or_b32_e32 v119, v80, v53
	s_waitcnt vmcnt(7) lgkmcnt(9)
	v_mul_f64 v[78:79], v[97:98], v[85:86]
	v_mul_f64 v[85:86], v[95:96], v[85:86]
	s_waitcnt vmcnt(6) lgkmcnt(8)
	v_mul_f64 v[107:108], v[101:102], v[89:90]
	v_mul_f64 v[89:90], v[99:100], v[89:90]
	s_waitcnt vmcnt(5) lgkmcnt(7)
	v_mul_f64 v[109:110], v[105:106], v[93:94]
	v_mul_f64 v[93:94], v[103:104], v[93:94]
	s_waitcnt vmcnt(4) lgkmcnt(5)
	v_mul_f64 v[111:112], v[30:31], v[14:15]
	v_mul_f64 v[14:15], v[28:29], v[14:15]
	v_fma_f64 v[95:96], v[95:96], v[83:84], v[78:79]
	v_fma_f64 v[83:84], v[97:98], v[83:84], -v[85:86]
	s_waitcnt vmcnt(3) lgkmcnt(4)
	v_mul_f64 v[85:86], v[34:35], v[6:7]
	v_mul_f64 v[6:7], v[32:33], v[6:7]
	s_waitcnt vmcnt(2) lgkmcnt(3)
	v_mul_f64 v[97:98], v[38:39], v[10:11]
	v_mul_f64 v[10:11], v[36:37], v[10:11]
	v_fma_f64 v[99:100], v[99:100], v[87:88], v[107:108]
	v_fma_f64 v[87:88], v[101:102], v[87:88], -v[89:90]
	s_waitcnt vmcnt(1) lgkmcnt(2)
	v_mul_f64 v[89:90], v[42:43], v[18:19]
	s_waitcnt vmcnt(0) lgkmcnt(1)
	v_mul_f64 v[101:102], v[46:47], v[26:27]
	v_mul_f64 v[18:19], v[40:41], v[18:19]
	;; [unrolled: 1-line block ×3, first 2 shown]
	v_fma_f64 v[103:104], v[103:104], v[91:92], v[109:110]
	v_fma_f64 v[91:92], v[105:106], v[91:92], -v[93:94]
	v_fma_f64 v[28:29], v[28:29], v[12:13], v[111:112]
	v_fma_f64 v[12:13], v[30:31], v[12:13], -v[14:15]
	v_lshrrev_b32_e32 v93, 2, v66
	v_and_b32_e32 v79, 0xff, v62
	v_mul_lo_u32 v106, v115, 12
	v_mul_lo_u32 v94, v113, 12
	v_mul_lo_u16 v105, 0xab, v114
	v_and_b32_e32 v78, 0xff, v66
	v_fma_f64 v[14:15], v[32:33], v[4:5], v[85:86]
	v_fma_f64 v[32:33], v[34:35], v[4:5], -v[6:7]
	v_fma_f64 v[30:31], v[36:37], v[8:9], v[97:98]
	v_fma_f64 v[34:35], v[38:39], v[8:9], -v[10:11]
	ds_read_b128 v[4:7], v48
	ds_read_b128 v[8:11], v49
	v_fma_f64 v[36:37], v[40:41], v[16:17], v[89:90]
	v_fma_f64 v[38:39], v[44:45], v[24:25], v[101:102]
	v_fma_f64 v[16:17], v[42:43], v[16:17], -v[18:19]
	v_fma_f64 v[18:19], v[46:47], v[24:25], -v[26:27]
	v_mul_lo_u32 v42, v93, 12
	v_mul_lo_u16 v24, 0xab, v79
	v_add_f64 v[26:27], v[83:84], v[87:88]
	v_add_f64 v[40:41], v[103:104], v[28:29]
	v_or_b32_e32 v121, v106, v81
	v_or_b32_e32 v120, v94, v54
	v_lshrrev_b16 v80, 11, v24
	v_add_f64 v[24:25], v[95:96], v[99:100]
	v_or_b32_e32 v122, v42, v82
	v_add_f64 v[42:43], v[91:92], v[12:13]
	s_waitcnt lgkmcnt(2)
	v_add_f64 v[46:47], v[22:23], v[83:84]
	v_add_f64 v[85:86], v[20:21], v[95:96]
	v_add_f64 v[83:84], v[83:84], -v[87:88]
	v_add_f64 v[95:96], v[95:96], -v[99:100]
	v_add_f64 v[44:45], v[14:15], v[30:31]
	v_add_f64 v[81:82], v[32:33], v[34:35]
	s_waitcnt lgkmcnt(1)
	v_add_f64 v[97:98], v[6:7], v[91:92]
	v_add_f64 v[101:102], v[4:5], v[103:104]
	v_lshrrev_b16 v53, 11, v105
	v_add_f64 v[89:90], v[36:37], v[38:39]
	v_add_f64 v[111:112], v[2:3], v[16:17]
	;; [unrolled: 1-line block ×3, first 2 shown]
	s_waitcnt lgkmcnt(0)
	v_add_f64 v[105:106], v[10:11], v[32:33]
	v_add_f64 v[91:92], v[91:92], -v[12:13]
	v_add_f64 v[103:104], v[103:104], -v[28:29]
	v_fma_f64 v[40:41], v[40:41], -0.5, v[4:5]
	v_add_f64 v[113:114], v[32:33], -v[34:35]
	v_add_f64 v[107:108], v[8:9], v[14:15]
	v_add_f64 v[109:110], v[0:1], v[36:37]
	v_fma_f64 v[20:21], v[24:25], -0.5, v[20:21]
	v_fma_f64 v[24:25], v[26:27], -0.5, v[22:23]
	;; [unrolled: 1-line block ×3, first 2 shown]
	v_add_f64 v[42:43], v[14:15], -v[30:31]
	v_add_f64 v[115:116], v[16:17], -v[18:19]
	;; [unrolled: 1-line block ×3, first 2 shown]
	v_add_f64 v[4:5], v[46:47], v[87:88]
	v_fma_f64 v[44:45], v[44:45], -0.5, v[8:9]
	v_fma_f64 v[81:82], v[81:82], -0.5, v[10:11]
	v_add_f64 v[8:9], v[97:98], v[12:13]
	v_add_f64 v[6:7], v[101:102], v[28:29]
	v_mul_lo_u16 v54, v53, 12
	v_fma_f64 v[0:1], v[89:90], -0.5, v[0:1]
	v_add_f64 v[16:17], v[111:112], v[18:19]
	v_fma_f64 v[46:47], v[93:94], -0.5, v[2:3]
	v_add_f64 v[2:3], v[85:86], v[99:100]
	v_add_f64 v[12:13], v[105:106], v[34:35]
	v_sub_nc_u16 v54, v58, v54
	v_fma_f64 v[26:27], v[91:92], s[4:5], v[40:41]
	v_lshl_add_u32 v85, v122, 4, 0
	v_add_f64 v[10:11], v[107:108], v[30:31]
	v_fma_f64 v[30:31], v[91:92], s[6:7], v[40:41]
	v_fma_f64 v[18:19], v[83:84], s[4:5], v[20:21]
	v_fma_f64 v[22:23], v[83:84], s[6:7], v[20:21]
	v_fma_f64 v[20:21], v[95:96], s[6:7], v[24:25]
	v_fma_f64 v[24:25], v[95:96], s[4:5], v[24:25]
	v_fma_f64 v[28:29], v[103:104], s[6:7], v[32:33]
	v_fma_f64 v[32:33], v[103:104], s[4:5], v[32:33]
	v_add_f64 v[14:15], v[109:110], v[38:39]
	v_fma_f64 v[34:35], v[113:114], s[4:5], v[44:45]
	v_fma_f64 v[36:37], v[42:43], s[6:7], v[81:82]
	;; [unrolled: 1-line block ×8, first 2 shown]
	v_lshl_add_u32 v0, v119, 4, 0
	v_mul_lo_u16 v1, v80, 12
	v_lshl_add_u32 v46, v120, 4, 0
	v_lshl_add_u32 v47, v121, 4, 0
	s_barrier
	buffer_gl0_inv
	ds_write_b128 v0, v[2:5]
	ds_write_b128 v0, v[18:21] offset:64
	ds_write_b128 v0, v[22:25] offset:128
	ds_write_b128 v46, v[6:9]
	ds_write_b128 v46, v[26:29] offset:64
	ds_write_b128 v46, v[30:33] offset:128
	ds_write_b128 v47, v[10:13]
	ds_write_b128 v47, v[34:37] offset:64
	ds_write_b128 v47, v[38:41] offset:128
	ds_write_b128 v85, v[14:17]
	ds_write_b128 v85, v[42:45] offset:64
	ds_write_b128 v85, v[81:84] offset:128
	v_mul_lo_u16 v0, 0xab, v55
	v_sub_nc_u16 v81, v62, v1
	v_lshlrev_b32_sdwa v86, v52, v54 dst_sel:DWORD dst_unused:UNUSED_PAD src0_sel:DWORD src1_sel:BYTE_0
	s_waitcnt lgkmcnt(0)
	s_barrier
	v_lshrrev_b16 v84, 11, v0
	v_lshlrev_b32_sdwa v0, v52, v81 dst_sel:DWORD dst_unused:UNUSED_PAD src0_sel:DWORD src1_sel:BYTE_0
	buffer_gl0_inv
	global_load_dwordx4 v[40:43], v86, s[12:13] offset:160
	v_mul_lo_u16 v1, 0xab, v78
	v_mul_lo_u16 v123, v78, 57
	s_clause 0x1
	global_load_dwordx4 v[90:93], v0, s[12:13] offset:160
	global_load_dwordx4 v[86:89], v86, s[12:13] offset:176
	v_mul_lo_u16 v55, v55, 57
	v_lshrrev_b16 v85, 11, v1
	v_mul_lo_u16 v1, v84, 12
	v_sub_nc_u16 v82, v67, v1
	v_mul_lo_u16 v1, v85, 12
	v_lshlrev_b32_sdwa v2, v52, v82 dst_sel:DWORD dst_unused:UNUSED_PAD src0_sel:DWORD src1_sel:BYTE_0
	v_sub_nc_u16 v83, v66, v1
	s_clause 0x1
	global_load_dwordx4 v[94:97], v0, s[12:13] offset:176
	global_load_dwordx4 v[4:7], v2, s[12:13] offset:160
	v_lshlrev_b32_sdwa v0, v52, v83 dst_sel:DWORD dst_unused:UNUSED_PAD src0_sel:DWORD src1_sel:BYTE_0
	s_clause 0x2
	global_load_dwordx4 v[8:11], v2, s[12:13] offset:176
	global_load_dwordx4 v[12:15], v0, s[12:13] offset:160
	global_load_dwordx4 v[20:23], v0, s[12:13] offset:176
	ds_read_b128 v[44:47], v51
	ds_read_b128 v[98:101], v69 offset:8064
	ds_read_b128 v[102:105], v69 offset:5040
	ds_read_b128 v[0:3], v50
	ds_read_b128 v[106:109], v69 offset:9072
	ds_read_b128 v[32:35], v69 offset:6048
	;; [unrolled: 1-line block ×5, first 2 shown]
	ds_read_b128 v[16:19], v69
	s_waitcnt vmcnt(7) lgkmcnt(9)
	v_mul_f64 v[110:111], v[46:47], v[42:43]
	v_mul_f64 v[112:113], v[44:45], v[42:43]
	s_waitcnt vmcnt(6) lgkmcnt(7)
	v_mul_f64 v[116:117], v[104:105], v[92:93]
	s_waitcnt vmcnt(5)
	v_mul_f64 v[114:115], v[100:101], v[88:89]
	v_mul_f64 v[88:89], v[98:99], v[88:89]
	;; [unrolled: 1-line block ×3, first 2 shown]
	s_waitcnt vmcnt(3) lgkmcnt(4)
	v_mul_f64 v[118:119], v[32:33], v[6:7]
	v_fma_f64 v[42:43], v[44:45], v[40:41], v[110:111]
	v_mul_f64 v[110:111], v[108:109], v[96:97]
	v_mul_f64 v[96:97], v[106:107], v[96:97]
	v_fma_f64 v[44:45], v[46:47], v[40:41], -v[112:113]
	v_mul_f64 v[112:113], v[34:35], v[6:7]
	v_fma_f64 v[6:7], v[98:99], v[86:87], v[114:115]
	v_fma_f64 v[40:41], v[100:101], v[86:87], -v[88:89]
	s_waitcnt vmcnt(2) lgkmcnt(2)
	v_mul_f64 v[86:87], v[38:39], v[10:11]
	v_mul_f64 v[88:89], v[36:37], v[10:11]
	s_waitcnt vmcnt(1)
	v_mul_f64 v[98:99], v[26:27], v[14:15]
	s_waitcnt vmcnt(0) lgkmcnt(1)
	v_mul_f64 v[100:101], v[30:31], v[22:23]
	v_fma_f64 v[10:11], v[102:103], v[90:91], v[116:117]
	v_fma_f64 v[46:47], v[104:105], v[90:91], -v[92:93]
	v_mul_f64 v[14:15], v[24:25], v[14:15]
	v_mul_f64 v[90:91], v[28:29], v[22:23]
	v_subrev_nc_u32_e32 v23, 36, v58
	v_mov_b32_e32 v102, 0x240
	v_mov_b32_e32 v22, 4
	v_cndmask_b32_e64 v122, v23, v58, s0
	v_mul_lo_u16 v23, v79, 57
	v_mov_b32_e32 v79, 0
	v_fma_f64 v[92:93], v[106:107], v[94:95], v[110:111]
	v_fma_f64 v[94:95], v[108:109], v[94:95], -v[96:97]
	v_lshlrev_b32_e32 v78, 1, v122
	v_fma_f64 v[32:33], v[32:33], v[4:5], v[112:113]
	v_fma_f64 v[4:5], v[34:35], v[4:5], -v[118:119]
	v_mul_u32_u24_sdwa v125, v53, v102 dst_sel:DWORD dst_unused:UNUSED_PAD src0_sel:WORD_0 src1_sel:DWORD
	v_fma_f64 v[36:37], v[36:37], v[8:9], v[86:87]
	v_fma_f64 v[34:35], v[38:39], v[8:9], -v[88:89]
	v_fma_f64 v[8:9], v[24:25], v[12:13], v[98:99]
	v_fma_f64 v[28:29], v[28:29], v[20:21], v[100:101]
	v_lshlrev_b32_sdwa v129, v22, v54 dst_sel:DWORD dst_unused:UNUSED_PAD src0_sel:DWORD src1_sel:BYTE_0
	v_add_f64 v[53:54], v[44:45], v[40:41]
	v_fma_f64 v[38:39], v[26:27], v[12:13], -v[14:15]
	v_fma_f64 v[20:21], v[30:31], v[20:21], -v[90:91]
	v_add_f64 v[30:31], v[42:43], v[6:7]
	v_mul_u32_u24_sdwa v126, v80, v102 dst_sel:DWORD dst_unused:UNUSED_PAD src0_sel:WORD_0 src1_sel:DWORD
	v_mul_u32_u24_sdwa v127, v84, v102 dst_sel:DWORD dst_unused:UNUSED_PAD src0_sel:WORD_0 src1_sel:DWORD
	;; [unrolled: 1-line block ×3, first 2 shown]
	v_lshlrev_b64 v[84:85], 4, v[78:79]
	v_lshlrev_b32_sdwa v130, v22, v81 dst_sel:DWORD dst_unused:UNUSED_PAD src0_sel:DWORD src1_sel:BYTE_0
	ds_read_b128 v[12:15], v48
	v_lshrrev_b16 v124, 11, v23
	ds_read_b128 v[23:26], v49
	v_add_f64 v[78:79], v[10:11], v[92:93]
	v_add_f64 v[80:81], v[46:47], v[94:95]
	v_lshlrev_b32_sdwa v131, v22, v82 dst_sel:DWORD dst_unused:UNUSED_PAD src0_sel:DWORD src1_sel:BYTE_0
	v_lshlrev_b32_sdwa v132, v22, v83 dst_sel:DWORD dst_unused:UNUSED_PAD src0_sel:DWORD src1_sel:BYTE_0
	s_waitcnt lgkmcnt(2)
	v_add_f64 v[86:87], v[18:19], v[44:45]
	v_add_f64 v[82:83], v[32:33], v[36:37]
	;; [unrolled: 1-line block ×5, first 2 shown]
	v_add_f64 v[44:45], v[44:45], -v[40:41]
	v_add_f64 v[42:43], v[42:43], -v[6:7]
	v_add_f64 v[108:109], v[2:3], v[38:39]
	v_add_f64 v[98:99], v[38:39], v[20:21]
	v_fma_f64 v[30:31], v[30:31], -0.5, v[16:17]
	v_fma_f64 v[53:54], v[53:54], -0.5, v[18:19]
	v_add_f64 v[110:111], v[0:1], v[8:9]
	v_add_f64 v[112:113], v[10:11], -v[92:93]
	s_waitcnt lgkmcnt(1)
	v_add_f64 v[100:101], v[14:15], v[46:47]
	v_add_f64 v[102:103], v[12:13], v[10:11]
	v_add_f64 v[46:47], v[46:47], -v[94:95]
	s_waitcnt lgkmcnt(0)
	v_add_f64 v[104:105], v[25:26], v[4:5]
	v_add_f64 v[106:107], v[23:24], v[32:33]
	v_fma_f64 v[78:79], v[78:79], -0.5, v[12:13]
	v_fma_f64 v[80:81], v[80:81], -0.5, v[14:15]
	v_add_f64 v[114:115], v[4:5], -v[34:35]
	v_add_f64 v[116:117], v[32:33], -v[36:37]
	;; [unrolled: 1-line block ×3, first 2 shown]
	v_fma_f64 v[82:83], v[82:83], -0.5, v[23:24]
	v_fma_f64 v[88:89], v[88:89], -0.5, v[25:26]
	v_add_f64 v[120:121], v[8:9], -v[28:29]
	v_fma_f64 v[0:1], v[96:97], -0.5, v[0:1]
	v_add_f64 v[4:5], v[86:87], v[40:41]
	v_add_f64 v[16:17], v[108:109], v[20:21]
	v_fma_f64 v[86:87], v[98:99], -0.5, v[2:3]
	v_add_f64 v[2:3], v[90:91], v[6:7]
	v_fma_f64 v[18:19], v[44:45], s[4:5], v[30:31]
	v_fma_f64 v[20:21], v[42:43], s[6:7], v[53:54]
	;; [unrolled: 1-line block ×4, first 2 shown]
	v_add_f64 v[8:9], v[100:101], v[94:95]
	v_add_f64 v[6:7], v[102:103], v[92:93]
	;; [unrolled: 1-line block ×4, first 2 shown]
	v_fma_f64 v[27:28], v[46:47], s[4:5], v[78:79]
	v_fma_f64 v[29:30], v[112:113], s[6:7], v[80:81]
	;; [unrolled: 1-line block ×4, first 2 shown]
	v_add_f64 v[10:11], v[106:107], v[36:37]
	v_fma_f64 v[35:36], v[114:115], s[4:5], v[82:83]
	v_fma_f64 v[37:38], v[116:117], s[6:7], v[88:89]
	;; [unrolled: 1-line block ×6, first 2 shown]
	v_add_co_u32 v53, s0, s12, v84
	v_fma_f64 v[45:46], v[120:121], s[6:7], v[86:87]
	v_fma_f64 v[80:81], v[120:121], s[4:5], v[86:87]
	v_add_co_ci_u32_e64 v54, s0, s13, v85, s0
	v_add3_u32 v0, 0, v125, v129
	v_add3_u32 v1, 0, v126, v130
	v_add3_u32 v47, 0, v127, v131
	v_add3_u32 v82, 0, v128, v132
	s_barrier
	buffer_gl0_inv
	ds_write_b128 v0, v[2:5]
	ds_write_b128 v0, v[18:21] offset:192
	ds_write_b128 v0, v[23:26] offset:384
	ds_write_b128 v1, v[6:9]
	ds_write_b128 v1, v[27:30] offset:192
	ds_write_b128 v1, v[31:34] offset:384
	;; [unrolled: 3-line block ×4, first 2 shown]
	s_waitcnt lgkmcnt(0)
	s_barrier
	buffer_gl0_inv
	s_clause 0x1
	global_load_dwordx4 v[0:3], v[53:54], off offset:544
	global_load_dwordx4 v[4:7], v[53:54], off offset:560
	v_lshrrev_b16 v47, 11, v55
	v_mul_lo_u16 v8, v124, 36
	v_lshrrev_b16 v108, 11, v123
	v_cmp_lt_u32_e64 s0, 35, v58
	v_lshlrev_b32_e32 v113, 4, v122
	v_mul_lo_u16 v9, v47, 36
	v_sub_nc_u16 v109, v62, v8
	v_mul_lo_u16 v8, v108, 36
	v_cndmask_b32_e64 v112, 0, 0x6c0, s0
	v_cmp_gt_u32_e64 s0, 45, v58
	v_sub_nc_u16 v110, v67, v9
	v_lshlrev_b32_sdwa v12, v52, v109 dst_sel:DWORD dst_unused:UNUSED_PAD src0_sel:DWORD src1_sel:BYTE_0
	v_sub_nc_u16 v111, v66, v8
	v_lshlrev_b32_sdwa v109, v22, v109 dst_sel:DWORD dst_unused:UNUSED_PAD src0_sel:DWORD src1_sel:BYTE_0
	v_lshlrev_b32_sdwa v20, v52, v110 dst_sel:DWORD dst_unused:UNUSED_PAD src0_sel:DWORD src1_sel:BYTE_0
	s_clause 0x2
	global_load_dwordx4 v[8:11], v12, s[12:13] offset:544
	global_load_dwordx4 v[12:15], v12, s[12:13] offset:560
	;; [unrolled: 1-line block ×3, first 2 shown]
	v_lshlrev_b32_sdwa v21, v52, v111 dst_sel:DWORD dst_unused:UNUSED_PAD src0_sel:DWORD src1_sel:BYTE_0
	s_clause 0x2
	global_load_dwordx4 v[23:26], v20, s[12:13] offset:560
	global_load_dwordx4 v[27:30], v21, s[12:13] offset:544
	;; [unrolled: 1-line block ×3, first 2 shown]
	ds_read_b128 v[35:38], v51
	ds_read_b128 v[39:42], v69 offset:8064
	ds_read_b128 v[43:46], v50
	ds_read_b128 v[50:53], v69 offset:5040
	ds_read_b128 v[78:81], v69 offset:9072
	;; [unrolled: 1-line block ×6, first 2 shown]
	ds_read_b128 v[98:101], v69
	s_waitcnt vmcnt(7) lgkmcnt(9)
	v_mul_f64 v[20:21], v[37:38], v[2:3]
	v_mul_f64 v[2:3], v[35:36], v[2:3]
	s_waitcnt vmcnt(6) lgkmcnt(8)
	v_mul_f64 v[54:55], v[41:42], v[6:7]
	v_mul_f64 v[6:7], v[39:40], v[6:7]
	;; [unrolled: 3-line block ×4, first 2 shown]
	s_waitcnt vmcnt(3) lgkmcnt(4)
	v_mul_f64 v[106:107], v[84:85], v[18:19]
	v_fma_f64 v[20:21], v[35:36], v[0:1], v[20:21]
	v_fma_f64 v[35:36], v[37:38], v[0:1], -v[2:3]
	v_mul_f64 v[0:1], v[82:83], v[18:19]
	s_waitcnt vmcnt(2) lgkmcnt(2)
	v_mul_f64 v[2:3], v[92:93], v[25:26]
	v_mul_f64 v[18:19], v[90:91], v[25:26]
	s_waitcnt vmcnt(1)
	v_mul_f64 v[25:26], v[88:89], v[29:30]
	v_fma_f64 v[37:38], v[39:40], v[4:5], v[54:55]
	v_fma_f64 v[39:40], v[41:42], v[4:5], -v[6:7]
	s_waitcnt vmcnt(0) lgkmcnt(1)
	v_mul_f64 v[4:5], v[96:97], v[33:34]
	v_mul_f64 v[6:7], v[86:87], v[29:30]
	;; [unrolled: 1-line block ×3, first 2 shown]
	v_mov_b32_e32 v54, 0x6c0
	v_mul_u32_u24_sdwa v115, v47, v54 dst_sel:DWORD dst_unused:UNUSED_PAD src0_sel:WORD_0 src1_sel:DWORD
	v_fma_f64 v[33:34], v[50:51], v[8:9], v[102:103]
	v_fma_f64 v[8:9], v[52:53], v[8:9], -v[10:11]
	v_fma_f64 v[41:42], v[78:79], v[12:13], v[104:105]
	v_fma_f64 v[10:11], v[80:81], v[12:13], -v[14:15]
	v_fma_f64 v[12:13], v[82:83], v[16:17], v[106:107]
	v_mul_u32_u24_sdwa v114, v124, v54 dst_sel:DWORD dst_unused:UNUSED_PAD src0_sel:WORD_0 src1_sel:DWORD
	v_mul_u32_u24_sdwa v108, v108, v54 dst_sel:DWORD dst_unused:UNUSED_PAD src0_sel:WORD_0 src1_sel:DWORD
	v_fma_f64 v[16:17], v[84:85], v[16:17], -v[0:1]
	v_fma_f64 v[14:15], v[90:91], v[23:24], v[2:3]
	v_fma_f64 v[18:19], v[92:93], v[23:24], -v[18:19]
	v_fma_f64 v[23:24], v[86:87], v[27:28], v[25:26]
	ds_read_b128 v[0:3], v48
	s_waitcnt lgkmcnt(1)
	v_add_f64 v[78:79], v[100:101], v[35:36]
	v_fma_f64 v[50:51], v[94:95], v[31:32], v[4:5]
	v_fma_f64 v[25:26], v[88:89], v[27:28], -v[6:7]
	ds_read_b128 v[4:7], v49
	v_fma_f64 v[52:53], v[96:97], v[31:32], -v[29:30]
	v_add_f64 v[27:28], v[20:21], v[37:38]
	v_add_f64 v[29:30], v[35:36], v[39:40]
	v_add_f64 v[86:87], v[35:36], -v[39:40]
	v_add_f64 v[82:83], v[98:99], v[20:21]
	v_add_f64 v[20:21], v[20:21], -v[37:38]
	s_waitcnt lgkmcnt(0)
	s_barrier
	v_add_f64 v[31:32], v[33:34], v[41:42]
	v_add_f64 v[47:48], v[8:9], v[10:11]
	v_add_f64 v[104:105], v[8:9], -v[10:11]
	v_add_f64 v[106:107], v[33:34], -v[41:42]
	buffer_gl0_inv
	v_add_f64 v[54:55], v[12:13], v[14:15]
	v_add_f64 v[80:81], v[16:17], v[18:19]
	;; [unrolled: 1-line block ×9, first 2 shown]
	v_fma_f64 v[98:99], v[27:28], -0.5, v[98:99]
	v_fma_f64 v[100:101], v[29:30], -0.5, v[100:101]
	v_add_f64 v[16:17], v[16:17], -v[18:19]
	v_add_f64 v[12:13], v[12:13], -v[14:15]
	v_add_f64 v[96:97], v[45:46], v[25:26]
	v_fma_f64 v[0:1], v[31:32], -0.5, v[0:1]
	v_fma_f64 v[2:3], v[47:48], -0.5, v[2:3]
	;; [unrolled: 1-line block ×4, first 2 shown]
	v_add_f64 v[54:55], v[25:26], -v[52:53]
	v_add_f64 v[80:81], v[23:24], -v[50:51]
	v_add_f64 v[25:26], v[78:79], v[39:40]
	v_fma_f64 v[84:85], v[84:85], -0.5, v[43:44]
	v_add_f64 v[23:24], v[82:83], v[37:38]
	v_add_f64 v[27:28], v[90:91], v[41:42]
	v_fma_f64 v[78:79], v[35:36], -0.5, v[45:46]
	v_fma_f64 v[35:36], v[86:87], s[4:5], v[98:99]
	v_fma_f64 v[37:38], v[20:21], s[6:7], v[100:101]
	;; [unrolled: 1-line block ×4, first 2 shown]
	v_add_f64 v[29:30], v[88:89], v[10:11]
	v_add_f64 v[8:9], v[102:103], v[50:51]
	;; [unrolled: 1-line block ×3, first 2 shown]
	v_fma_f64 v[43:44], v[104:105], s[4:5], v[0:1]
	v_fma_f64 v[45:46], v[106:107], s[6:7], v[2:3]
	;; [unrolled: 1-line block ×4, first 2 shown]
	v_add_f64 v[31:32], v[94:95], v[14:15]
	v_add_f64 v[10:11], v[96:97], v[52:53]
	v_fma_f64 v[0:1], v[16:17], s[4:5], v[4:5]
	v_fma_f64 v[2:3], v[12:13], s[6:7], v[6:7]
	;; [unrolled: 1-line block ×4, first 2 shown]
	v_lshlrev_b32_sdwa v20, v22, v110 dst_sel:DWORD dst_unused:UNUSED_PAD src0_sel:DWORD src1_sel:BYTE_0
	v_fma_f64 v[12:13], v[54:55], s[4:5], v[84:85]
	v_fma_f64 v[16:17], v[54:55], s[6:7], v[84:85]
	v_lshlrev_b32_sdwa v21, v22, v111 dst_sel:DWORD dst_unused:UNUSED_PAD src0_sel:DWORD src1_sel:BYTE_0
	v_fma_f64 v[14:15], v[80:81], s[6:7], v[78:79]
	v_fma_f64 v[18:19], v[80:81], s[4:5], v[78:79]
	v_add3_u32 v22, 0, v112, v113
	v_add3_u32 v51, 0, v114, v109
	;; [unrolled: 1-line block ×4, first 2 shown]
	ds_write_b128 v22, v[23:26]
	ds_write_b128 v22, v[35:38] offset:576
	ds_write_b128 v22, v[39:42] offset:1152
	ds_write_b128 v51, v[27:30]
	ds_write_b128 v51, v[43:46] offset:576
	ds_write_b128 v51, v[47:50] offset:1152
	;; [unrolled: 3-line block ×4, first 2 shown]
	s_waitcnt lgkmcnt(0)
	s_barrier
	buffer_gl0_inv
	ds_read_b128 v[28:31], v69
	ds_read_b128 v[48:51], v69 offset:1728
	ds_read_b128 v[44:47], v69 offset:3456
	;; [unrolled: 1-line block ×6, first 2 shown]
	v_sub_nc_u32_e32 v20, 0, v77
                                        ; implicit-def: $vgpr26_vgpr27
                                        ; implicit-def: $vgpr22_vgpr23
	v_add_nc_u32_e32 v76, v76, v20
	s_and_saveexec_b32 s1, s0
	s_cbranch_execz .LBB0_15
; %bb.14:
	ds_read_b128 v[0:3], v76
	ds_read_b128 v[4:7], v69 offset:2736
	ds_read_b128 v[8:11], v69 offset:4464
	;; [unrolled: 1-line block ×6, first 2 shown]
.LBB0_15:
	s_or_b32 exec_lo, exec_lo, s1
	v_mul_u32_u24_e32 v77, 6, v58
	s_mov_b32 s8, 0x37e14327
	s_mov_b32 s16, 0xe976ee23
	;; [unrolled: 1-line block ×4, first 2 shown]
	v_lshlrev_b32_e32 v97, 4, v77
	s_mov_b32 s6, 0x429ad128
	s_mov_b32 s4, 0x36b3c0b5
	;; [unrolled: 1-line block ×4, first 2 shown]
	s_clause 0x5
	global_load_dwordx4 v[77:80], v97, s[12:13] offset:1696
	global_load_dwordx4 v[81:84], v97, s[12:13] offset:1712
	;; [unrolled: 1-line block ×6, first 2 shown]
	s_mov_b32 s14, 0xaaaaaaaa
	s_mov_b32 s22, 0xb247c609
	;; [unrolled: 1-line block ×12, first 2 shown]
	s_waitcnt vmcnt(0) lgkmcnt(0)
	s_barrier
	buffer_gl0_inv
	v_mul_f64 v[101:102], v[50:51], v[79:80]
	v_mul_f64 v[79:80], v[48:49], v[79:80]
	;; [unrolled: 1-line block ×12, first 2 shown]
	v_fma_f64 v[48:49], v[48:49], v[77:78], v[101:102]
	v_fma_f64 v[50:51], v[50:51], v[77:78], -v[79:80]
	v_fma_f64 v[44:45], v[44:45], v[81:82], v[103:104]
	v_fma_f64 v[46:47], v[46:47], v[81:82], -v[83:84]
	;; [unrolled: 2-line block ×6, first 2 shown]
	v_add_f64 v[77:78], v[48:49], v[52:53]
	v_add_f64 v[79:80], v[50:51], v[54:55]
	;; [unrolled: 1-line block ×4, first 2 shown]
	v_add_f64 v[40:41], v[44:45], -v[40:41]
	v_add_f64 v[42:43], v[46:47], -v[42:43]
	v_add_f64 v[44:45], v[36:37], v[32:33]
	v_add_f64 v[46:47], v[38:39], v[34:35]
	v_add_f64 v[32:33], v[32:33], -v[36:37]
	v_add_f64 v[34:35], v[34:35], -v[38:39]
	;; [unrolled: 1-line block ×4, first 2 shown]
	v_add_f64 v[48:49], v[81:82], v[77:78]
	v_add_f64 v[50:51], v[83:84], v[79:80]
	v_add_f64 v[52:53], v[77:78], -v[44:45]
	v_add_f64 v[54:55], v[79:80], -v[46:47]
	;; [unrolled: 1-line block ×6, first 2 shown]
	v_add_f64 v[40:41], v[32:33], v[40:41]
	v_add_f64 v[42:43], v[34:35], v[42:43]
	v_add_f64 v[32:33], v[36:37], -v[32:33]
	v_add_f64 v[34:35], v[38:39], -v[34:35]
	;; [unrolled: 1-line block ×4, first 2 shown]
	v_add_f64 v[48:49], v[44:45], v[48:49]
	v_add_f64 v[50:51], v[46:47], v[50:51]
	v_add_f64 v[44:45], v[44:45], -v[81:82]
	v_add_f64 v[46:47], v[46:47], -v[83:84]
	v_mul_f64 v[52:53], v[52:53], s[8:9]
	v_mul_f64 v[54:55], v[54:55], s[8:9]
	v_mul_f64 v[85:86], v[85:86], s[16:17]
	v_mul_f64 v[87:88], v[87:88], s[16:17]
	v_mul_f64 v[93:94], v[89:90], s[6:7]
	v_mul_f64 v[95:96], v[91:92], s[6:7]
	v_add_f64 v[36:37], v[40:41], v[36:37]
	v_add_f64 v[38:39], v[42:43], v[38:39]
	;; [unrolled: 1-line block ×4, first 2 shown]
	v_mul_f64 v[81:82], v[44:45], s[4:5]
	v_mul_f64 v[83:84], v[46:47], s[4:5]
	v_fma_f64 v[40:41], v[44:45], s[4:5], v[52:53]
	v_fma_f64 v[42:43], v[46:47], s[4:5], v[54:55]
	;; [unrolled: 1-line block ×4, first 2 shown]
	v_fma_f64 v[85:86], v[89:90], s[6:7], -v[85:86]
	v_fma_f64 v[87:88], v[91:92], s[6:7], -v[87:88]
	;; [unrolled: 1-line block ×6, first 2 shown]
	v_fma_f64 v[48:49], v[48:49], s[14:15], v[28:29]
	v_fma_f64 v[50:51], v[50:51], s[14:15], v[30:31]
	v_fma_f64 v[77:78], v[77:78], s[18:19], -v[81:82]
	v_fma_f64 v[79:80], v[79:80], s[18:19], -v[83:84]
	v_fma_f64 v[81:82], v[36:37], s[26:27], v[44:45]
	v_fma_f64 v[83:84], v[38:39], s[26:27], v[46:47]
	;; [unrolled: 1-line block ×6, first 2 shown]
	v_add_f64 v[89:90], v[40:41], v[48:49]
	v_add_f64 v[91:92], v[42:43], v[50:51]
	;; [unrolled: 1-line block ×7, first 2 shown]
	v_add_f64 v[34:35], v[91:92], -v[81:82]
	v_add_f64 v[36:37], v[87:88], v[52:53]
	v_add_f64 v[38:39], v[54:55], -v[85:86]
	v_add_f64 v[40:41], v[48:49], -v[44:45]
	v_add_f64 v[42:43], v[46:47], v[50:51]
	v_add_f64 v[44:45], v[44:45], v[48:49]
	v_add_f64 v[46:47], v[50:51], -v[46:47]
	v_add_f64 v[48:49], v[52:53], -v[87:88]
	v_add_f64 v[50:51], v[85:86], v[54:55]
	v_add_f64 v[52:53], v[89:90], -v[83:84]
	v_add_f64 v[54:55], v[81:82], v[91:92]
	ds_write_b128 v69, v[28:31]
	ds_write_b128 v69, v[32:35] offset:1728
	ds_write_b128 v69, v[36:39] offset:3456
	;; [unrolled: 1-line block ×6, first 2 shown]
	s_and_saveexec_b32 s1, s0
	s_cbranch_execz .LBB0_17
; %bb.16:
	v_subrev_nc_u32_e32 v28, 45, v58
	v_mov_b32_e32 v29, 0
	v_cndmask_b32_e64 v28, v28, v62, s0
	v_mul_i32_i24_e32 v28, 6, v28
	v_lshlrev_b64 v[28:29], 4, v[28:29]
	v_add_co_u32 v48, s0, s12, v28
	v_add_co_ci_u32_e64 v49, s0, s13, v29, s0
	s_clause 0x5
	global_load_dwordx4 v[28:31], v[48:49], off offset:1712
	global_load_dwordx4 v[32:35], v[48:49], off offset:1760
	;; [unrolled: 1-line block ×6, first 2 shown]
	s_waitcnt vmcnt(5)
	v_mul_f64 v[52:53], v[8:9], v[30:31]
	s_waitcnt vmcnt(4)
	v_mul_f64 v[54:55], v[20:21], v[34:35]
	;; [unrolled: 2-line block ×4, first 2 shown]
	v_mul_f64 v[30:31], v[10:11], v[30:31]
	v_mul_f64 v[34:35], v[22:23], v[34:35]
	;; [unrolled: 1-line block ×4, first 2 shown]
	s_waitcnt vmcnt(1)
	v_mul_f64 v[81:82], v[18:19], v[46:47]
	s_waitcnt vmcnt(0)
	v_mul_f64 v[83:84], v[14:15], v[50:51]
	v_mul_f64 v[50:51], v[12:13], v[50:51]
	;; [unrolled: 1-line block ×3, first 2 shown]
	v_fma_f64 v[10:11], v[10:11], v[28:29], -v[52:53]
	v_fma_f64 v[22:23], v[22:23], v[32:33], -v[54:55]
	;; [unrolled: 1-line block ×4, first 2 shown]
	v_fma_f64 v[8:9], v[8:9], v[28:29], v[30:31]
	v_fma_f64 v[20:21], v[20:21], v[32:33], v[34:35]
	v_fma_f64 v[4:5], v[4:5], v[36:37], v[38:39]
	v_fma_f64 v[24:25], v[24:25], v[40:41], v[42:43]
	v_fma_f64 v[16:17], v[16:17], v[44:45], v[81:82]
	v_fma_f64 v[12:13], v[12:13], v[48:49], v[83:84]
	v_fma_f64 v[14:15], v[14:15], v[48:49], -v[50:51]
	v_fma_f64 v[18:19], v[18:19], v[44:45], -v[46:47]
	v_add_f64 v[28:29], v[10:11], v[22:23]
	v_add_f64 v[10:11], v[10:11], -v[22:23]
	v_add_f64 v[30:31], v[6:7], v[26:27]
	v_add_f64 v[6:7], v[6:7], -v[26:27]
	;; [unrolled: 2-line block ×4, first 2 shown]
	v_add_f64 v[36:37], v[16:17], -v[12:13]
	v_add_f64 v[12:13], v[12:13], v[16:17]
	v_add_f64 v[20:21], v[14:15], v[18:19]
	v_add_f64 v[14:15], v[18:19], -v[14:15]
	v_add_f64 v[16:17], v[28:29], v[30:31]
	v_add_f64 v[42:43], v[10:11], -v[6:7]
	;; [unrolled: 2-line block ×3, first 2 shown]
	v_add_f64 v[22:23], v[36:37], -v[8:9]
	v_add_f64 v[26:27], v[34:35], -v[12:13]
	;; [unrolled: 1-line block ×4, first 2 shown]
	v_add_f64 v[8:9], v[36:37], v[8:9]
	v_add_f64 v[36:37], v[4:5], -v[36:37]
	v_add_f64 v[10:11], v[14:15], v[10:11]
	v_add_f64 v[14:15], v[6:7], -v[14:15]
	;; [unrolled: 2-line block ×3, first 2 shown]
	v_add_f64 v[28:29], v[28:29], -v[30:31]
	v_mul_f64 v[46:47], v[42:43], s[6:7]
	v_add_f64 v[18:19], v[12:13], v[18:19]
	v_add_f64 v[12:13], v[12:13], -v[32:33]
	v_mul_f64 v[22:23], v[22:23], s[16:17]
	v_mul_f64 v[26:27], v[26:27], s[8:9]
	;; [unrolled: 1-line block ×5, first 2 shown]
	v_add_f64 v[32:33], v[32:33], -v[34:35]
	v_add_f64 v[4:5], v[8:9], v[4:5]
	v_add_f64 v[6:7], v[10:11], v[6:7]
	;; [unrolled: 1-line block ×3, first 2 shown]
	v_mul_f64 v[30:31], v[20:21], s[4:5]
	v_add_f64 v[0:1], v[0:1], v[18:19]
	v_mul_f64 v[34:35], v[12:13], s[4:5]
	v_fma_f64 v[8:9], v[36:37], s[22:23], v[22:23]
	v_fma_f64 v[12:13], v[12:13], s[4:5], v[26:27]
	;; [unrolled: 1-line block ×3, first 2 shown]
	v_fma_f64 v[20:21], v[36:37], s[24:25], -v[44:45]
	v_fma_f64 v[22:23], v[38:39], s[6:7], -v[22:23]
	;; [unrolled: 1-line block ×5, first 2 shown]
	v_fma_f64 v[16:17], v[16:17], s[14:15], v[2:3]
	v_fma_f64 v[28:29], v[28:29], s[18:19], -v[30:31]
	v_fma_f64 v[30:31], v[14:15], s[22:23], v[40:41]
	v_fma_f64 v[14:15], v[14:15], s[24:25], -v[46:47]
	;; [unrolled: 2-line block ×3, first 2 shown]
	v_fma_f64 v[8:9], v[4:5], s[26:27], v[8:9]
	v_fma_f64 v[20:21], v[4:5], s[26:27], v[20:21]
	;; [unrolled: 1-line block ×4, first 2 shown]
	v_add_f64 v[34:35], v[10:11], v[16:17]
	v_add_f64 v[22:23], v[24:25], v[16:17]
	;; [unrolled: 1-line block ×3, first 2 shown]
	v_fma_f64 v[28:29], v[6:7], s[26:27], v[30:31]
	v_add_f64 v[38:39], v[12:13], v[18:19]
	v_fma_f64 v[30:31], v[6:7], s[26:27], v[14:15]
	v_add_f64 v[40:41], v[26:27], v[18:19]
	v_add_f64 v[12:13], v[32:33], v[18:19]
	v_add_f64 v[26:27], v[34:35], -v[8:9]
	v_add_f64 v[10:11], v[20:21], v[22:23]
	v_add_f64 v[22:23], v[22:23], -v[20:21]
	v_add_f64 v[14:15], v[16:17], -v[4:5]
	v_add_f64 v[24:25], v[28:29], v[38:39]
	v_add_f64 v[18:19], v[4:5], v[16:17]
	;; [unrolled: 1-line block ×3, first 2 shown]
	v_add_f64 v[16:17], v[12:13], -v[36:37]
	v_add_f64 v[12:13], v[36:37], v[12:13]
	v_add_f64 v[6:7], v[8:9], v[34:35]
	v_add_f64 v[8:9], v[40:41], -v[30:31]
	v_add_f64 v[4:5], v[38:39], -v[28:29]
	ds_write_b128 v69, v[0:3] offset:1008
	ds_write_b128 v69, v[24:27] offset:2736
	ds_write_b128 v69, v[20:23] offset:4464
	ds_write_b128 v69, v[16:19] offset:6192
	ds_write_b128 v69, v[12:15] offset:7920
	ds_write_b128 v69, v[8:11] offset:9648
	ds_write_b128 v69, v[4:7] offset:11376
.LBB0_17:
	s_or_b32 exec_lo, exec_lo, s1
	s_waitcnt lgkmcnt(0)
	s_barrier
	buffer_gl0_inv
	ds_read_b128 v[4:7], v69
	v_sub_nc_u32_e32 v12, 0, v59
	s_add_u32 s1, s12, 0x2f20
	s_addc_u32 s4, s13, 0
	s_mov_b32 s5, exec_lo
                                        ; implicit-def: $vgpr0_vgpr1
                                        ; implicit-def: $vgpr8_vgpr9
                                        ; implicit-def: $vgpr10_vgpr11
	v_cmpx_ne_u32_e32 0, v58
	s_xor_b32 s5, exec_lo, s5
	s_cbranch_execz .LBB0_19
; %bb.18:
	v_mov_b32_e32 v59, 0
	v_lshlrev_b64 v[0:1], 4, v[58:59]
	v_add_co_u32 v0, s0, s1, v0
	v_add_co_ci_u32_e64 v1, s0, s4, v1, s0
	global_load_dwordx4 v[13:16], v[0:1], off
	ds_read_b128 v[0:3], v12 offset:12096
	s_waitcnt lgkmcnt(0)
	v_add_f64 v[8:9], v[4:5], -v[0:1]
	v_add_f64 v[10:11], v[6:7], v[2:3]
	v_add_f64 v[2:3], v[6:7], -v[2:3]
	v_add_f64 v[0:1], v[4:5], v[0:1]
	v_mul_f64 v[6:7], v[8:9], 0.5
	v_mul_f64 v[4:5], v[10:11], 0.5
	v_mul_f64 v[2:3], v[2:3], 0.5
	s_waitcnt vmcnt(0)
	v_mul_f64 v[8:9], v[6:7], v[15:16]
	v_fma_f64 v[10:11], v[4:5], v[15:16], v[2:3]
	v_fma_f64 v[2:3], v[4:5], v[15:16], -v[2:3]
	v_fma_f64 v[17:18], v[0:1], 0.5, v[8:9]
	v_fma_f64 v[0:1], v[0:1], 0.5, -v[8:9]
	v_fma_f64 v[10:11], -v[13:14], v[6:7], v[10:11]
	v_fma_f64 v[2:3], -v[13:14], v[6:7], v[2:3]
	v_fma_f64 v[8:9], v[4:5], v[13:14], v[17:18]
	v_fma_f64 v[0:1], -v[4:5], v[13:14], v[0:1]
                                        ; implicit-def: $vgpr4_vgpr5
.LBB0_19:
	s_or_saveexec_b32 s0, s5
	v_sub_nc_u32_e32 v16, 0, v63
	v_sub_nc_u32_e32 v15, 0, v68
	;; [unrolled: 1-line block ×4, first 2 shown]
	s_xor_b32 exec_lo, exec_lo, s0
	s_cbranch_execz .LBB0_21
; %bb.20:
	v_mov_b32_e32 v19, 0
	s_waitcnt lgkmcnt(0)
	v_add_f64 v[8:9], v[4:5], v[6:7]
	v_add_f64 v[0:1], v[4:5], -v[6:7]
	v_mov_b32_e32 v10, 0
	v_mov_b32_e32 v11, 0
	ds_read_b64 v[17:18], v19 offset:6056
	v_mov_b32_e32 v2, v10
	v_mov_b32_e32 v3, v11
	s_waitcnt lgkmcnt(0)
	v_xor_b32_e32 v18, 0x80000000, v18
	ds_write_b64 v19, v[17:18] offset:6056
.LBB0_21:
	s_or_b32 exec_lo, exec_lo, s0
	v_mov_b32_e32 v63, 0
	ds_write2_b64 v69, v[8:9], v[10:11] offset1:1
	ds_write_b128 v12, v[0:3] offset:12096
	v_add_nc_u32_e32 v29, v71, v16
	v_add_nc_u32_e32 v14, v73, v14
	s_waitcnt lgkmcnt(2)
	v_lshlrev_b64 v[4:5], 4, v[62:63]
	v_mov_b32_e32 v68, v63
	v_lshlrev_b64 v[17:18], 4, v[67:68]
	v_add_co_u32 v4, s0, s1, v4
	v_add_co_ci_u32_e64 v5, s0, s4, v5, s0
	v_mov_b32_e32 v67, v63
	v_add_co_u32 v17, s0, s1, v17
	global_load_dwordx4 v[4:7], v[4:5], off
	v_add_co_ci_u32_e64 v18, s0, s4, v18, s0
	v_lshlrev_b64 v[21:22], 4, v[66:67]
	v_mov_b32_e32 v66, v63
	global_load_dwordx4 v[17:20], v[17:18], off
	ds_read_b128 v[0:3], v76
	ds_read_b128 v[8:11], v12 offset:11088
	v_add_co_u32 v21, s0, s1, v21
	v_add_co_ci_u32_e64 v22, s0, s4, v22, s0
	global_load_dwordx4 v[21:24], v[21:22], off
	s_waitcnt lgkmcnt(0)
	v_add_f64 v[25:26], v[0:1], -v[8:9]
	v_add_f64 v[27:28], v[2:3], v[10:11]
	v_add_f64 v[2:3], v[2:3], -v[10:11]
	v_add_f64 v[0:1], v[0:1], v[8:9]
	v_mul_f64 v[10:11], v[25:26], 0.5
	v_mul_f64 v[25:26], v[27:28], 0.5
	;; [unrolled: 1-line block ×3, first 2 shown]
	s_waitcnt vmcnt(2)
	v_mul_f64 v[8:9], v[10:11], v[6:7]
	v_fma_f64 v[27:28], v[25:26], v[6:7], v[2:3]
	v_fma_f64 v[2:3], v[25:26], v[6:7], -v[2:3]
	v_fma_f64 v[6:7], v[0:1], 0.5, v[8:9]
	v_fma_f64 v[0:1], v[0:1], 0.5, -v[8:9]
	v_fma_f64 v[8:9], -v[4:5], v[10:11], v[27:28]
	v_fma_f64 v[2:3], -v[4:5], v[10:11], v[2:3]
	v_lshlrev_b64 v[10:11], 4, v[65:66]
	v_mov_b32_e32 v65, v63
	v_fma_f64 v[6:7], v[25:26], v[4:5], v[6:7]
	v_fma_f64 v[0:1], -v[25:26], v[4:5], v[0:1]
	ds_write_b64 v76, v[8:9] offset:8
	ds_write_b64 v12, v[2:3] offset:11096
	ds_write_b64 v76, v[6:7]
	ds_write_b64 v12, v[0:1] offset:11088
	v_add_co_u32 v8, s0, s1, v10
	v_add_co_ci_u32_e64 v9, s0, s4, v11, s0
	ds_read_b128 v[0:3], v29
	ds_read_b128 v[4:7], v12 offset:10080
	global_load_dwordx4 v[8:11], v[8:9], off
	s_waitcnt lgkmcnt(0)
	v_add_f64 v[25:26], v[0:1], -v[4:5]
	v_add_f64 v[27:28], v[2:3], v[6:7]
	v_add_f64 v[2:3], v[2:3], -v[6:7]
	v_add_f64 v[0:1], v[0:1], v[4:5]
	v_mul_f64 v[6:7], v[25:26], 0.5
	v_mul_f64 v[25:26], v[27:28], 0.5
	;; [unrolled: 1-line block ×3, first 2 shown]
	s_waitcnt vmcnt(2)
	v_mul_f64 v[4:5], v[6:7], v[19:20]
	v_fma_f64 v[27:28], v[25:26], v[19:20], v[2:3]
	v_fma_f64 v[2:3], v[25:26], v[19:20], -v[2:3]
	v_fma_f64 v[19:20], v[0:1], 0.5, v[4:5]
	v_fma_f64 v[0:1], v[0:1], 0.5, -v[4:5]
	v_fma_f64 v[4:5], -v[17:18], v[6:7], v[27:28]
	v_fma_f64 v[2:3], -v[17:18], v[6:7], v[2:3]
	v_add_nc_u32_e32 v27, v70, v15
	v_lshlrev_b64 v[15:16], 4, v[64:65]
	v_add_co_u32 v15, s0, s1, v15
	v_add_co_ci_u32_e64 v16, s0, s4, v16, s0
	v_fma_f64 v[6:7], v[25:26], v[17:18], v[19:20]
	v_fma_f64 v[0:1], -v[25:26], v[17:18], v[0:1]
	ds_write_b64 v29, v[4:5] offset:8
	ds_write_b64 v12, v[2:3] offset:10088
	ds_write_b64 v29, v[6:7]
	ds_write_b64 v12, v[0:1] offset:10080
	ds_read_b128 v[0:3], v27
	ds_read_b128 v[4:7], v12 offset:9072
	global_load_dwordx4 v[15:18], v[15:16], off
	s_waitcnt lgkmcnt(0)
	v_add_f64 v[19:20], v[0:1], -v[4:5]
	v_add_f64 v[25:26], v[2:3], v[6:7]
	v_add_f64 v[2:3], v[2:3], -v[6:7]
	v_add_f64 v[0:1], v[0:1], v[4:5]
	v_mul_f64 v[6:7], v[19:20], 0.5
	v_mul_f64 v[19:20], v[25:26], 0.5
	;; [unrolled: 1-line block ×3, first 2 shown]
	s_waitcnt vmcnt(2)
	v_mul_f64 v[4:5], v[6:7], v[23:24]
	v_fma_f64 v[25:26], v[19:20], v[23:24], v[2:3]
	v_fma_f64 v[2:3], v[19:20], v[23:24], -v[2:3]
	v_fma_f64 v[23:24], v[0:1], 0.5, v[4:5]
	v_fma_f64 v[0:1], v[0:1], 0.5, -v[4:5]
	v_fma_f64 v[4:5], -v[21:22], v[6:7], v[25:26]
	v_fma_f64 v[2:3], -v[21:22], v[6:7], v[2:3]
	v_fma_f64 v[6:7], v[19:20], v[21:22], v[23:24]
	v_fma_f64 v[0:1], -v[19:20], v[21:22], v[0:1]
	ds_write_b64 v27, v[4:5] offset:8
	ds_write_b64 v12, v[2:3] offset:9080
	ds_write_b64 v27, v[6:7]
	ds_write_b64 v12, v[0:1] offset:9072
	ds_read_b128 v[0:3], v14
	ds_read_b128 v[4:7], v12 offset:8064
	s_waitcnt lgkmcnt(0)
	v_add_f64 v[19:20], v[0:1], -v[4:5]
	v_add_f64 v[21:22], v[2:3], v[6:7]
	v_add_f64 v[2:3], v[2:3], -v[6:7]
	v_add_f64 v[0:1], v[0:1], v[4:5]
	v_mul_f64 v[6:7], v[19:20], 0.5
	v_mul_f64 v[19:20], v[21:22], 0.5
	;; [unrolled: 1-line block ×3, first 2 shown]
	s_waitcnt vmcnt(1)
	v_mul_f64 v[4:5], v[6:7], v[10:11]
	v_fma_f64 v[21:22], v[19:20], v[10:11], v[2:3]
	v_fma_f64 v[2:3], v[19:20], v[10:11], -v[2:3]
	v_fma_f64 v[10:11], v[0:1], 0.5, v[4:5]
	v_fma_f64 v[0:1], v[0:1], 0.5, -v[4:5]
	v_fma_f64 v[4:5], -v[8:9], v[6:7], v[21:22]
	v_fma_f64 v[2:3], -v[8:9], v[6:7], v[2:3]
	v_fma_f64 v[6:7], v[19:20], v[8:9], v[10:11]
	v_fma_f64 v[0:1], -v[19:20], v[8:9], v[0:1]
	v_add_nc_u32_e32 v19, v72, v13
	ds_write_b64 v14, v[4:5] offset:8
	ds_write_b64 v12, v[2:3] offset:8072
	ds_write_b64 v14, v[6:7]
	ds_write_b64 v12, v[0:1] offset:8064
	ds_read_b128 v[0:3], v19
	ds_read_b128 v[4:7], v12 offset:7056
	s_waitcnt lgkmcnt(0)
	v_add_f64 v[8:9], v[0:1], -v[4:5]
	v_add_f64 v[10:11], v[2:3], v[6:7]
	v_add_f64 v[2:3], v[2:3], -v[6:7]
	v_add_f64 v[0:1], v[0:1], v[4:5]
	v_mul_f64 v[6:7], v[8:9], 0.5
	v_mul_f64 v[8:9], v[10:11], 0.5
	;; [unrolled: 1-line block ×3, first 2 shown]
	s_waitcnt vmcnt(0)
	v_mul_f64 v[4:5], v[6:7], v[17:18]
	v_fma_f64 v[10:11], v[8:9], v[17:18], v[2:3]
	v_fma_f64 v[2:3], v[8:9], v[17:18], -v[2:3]
	v_fma_f64 v[13:14], v[0:1], 0.5, v[4:5]
	v_fma_f64 v[0:1], v[0:1], 0.5, -v[4:5]
	v_fma_f64 v[4:5], -v[15:16], v[6:7], v[10:11]
	v_fma_f64 v[2:3], -v[15:16], v[6:7], v[2:3]
	v_fma_f64 v[6:7], v[8:9], v[15:16], v[13:14]
	v_fma_f64 v[0:1], -v[8:9], v[15:16], v[0:1]
	ds_write_b64 v19, v[4:5] offset:8
	ds_write_b64 v12, v[2:3] offset:7064
	ds_write_b64 v19, v[6:7]
	ds_write_b64 v12, v[0:1] offset:7056
	s_waitcnt lgkmcnt(0)
	s_barrier
	buffer_gl0_inv
	s_and_saveexec_b32 s0, vcc_lo
	s_cbranch_execz .LBB0_24
; %bb.22:
	v_mul_lo_u32 v2, s3, v60
	v_mul_lo_u32 v3, s2, v61
	v_mad_u64_u32 v[0:1], null, s2, v60, 0
	v_mov_b32_e32 v59, v63
	v_lshlrev_b64 v[10:11], 4, v[56:57]
	v_lshl_add_u32 v28, v58, 4, 0
	v_add_nc_u32_e32 v62, 63, v58
	v_lshlrev_b64 v[12:13], 4, v[58:59]
	v_add3_u32 v1, v1, v3, v2
	ds_read_b128 v[2:5], v28
	ds_read_b128 v[6:9], v28 offset:1008
	v_lshlrev_b64 v[18:19], 4, v[62:63]
	v_add_nc_u32_e32 v62, 0x7e, v58
	v_lshlrev_b64 v[0:1], 4, v[0:1]
	v_lshlrev_b64 v[20:21], 4, v[62:63]
	v_add_nc_u32_e32 v62, 0xbd, v58
	v_add_co_u32 v0, vcc_lo, s10, v0
	v_add_co_ci_u32_e32 v1, vcc_lo, s11, v1, vcc_lo
	v_lshlrev_b64 v[24:25], 4, v[62:63]
	v_add_co_u32 v0, vcc_lo, v0, v10
	v_add_co_ci_u32_e32 v1, vcc_lo, v1, v11, vcc_lo
	v_add_nc_u32_e32 v62, 0xfc, v58
	v_add_co_u32 v22, vcc_lo, v0, v12
	v_add_co_ci_u32_e32 v23, vcc_lo, v1, v13, vcc_lo
	ds_read_b128 v[10:13], v28 offset:2016
	ds_read_b128 v[14:17], v28 offset:3024
	v_add_co_u32 v18, vcc_lo, v0, v18
	v_add_co_ci_u32_e32 v19, vcc_lo, v1, v19, vcc_lo
	v_add_co_u32 v20, vcc_lo, v0, v20
	v_add_co_ci_u32_e32 v21, vcc_lo, v1, v21, vcc_lo
	v_add_co_u32 v24, vcc_lo, v0, v24
	v_add_co_ci_u32_e32 v25, vcc_lo, v1, v25, vcc_lo
	v_lshlrev_b64 v[26:27], 4, v[62:63]
	v_add_nc_u32_e32 v62, 0x13b, v58
	s_waitcnt lgkmcnt(3)
	global_store_dwordx4 v[22:23], v[2:5], off
	s_waitcnt lgkmcnt(2)
	global_store_dwordx4 v[18:19], v[6:9], off
	;; [unrolled: 2-line block ×4, first 2 shown]
	ds_read_b128 v[2:5], v28 offset:4032
	ds_read_b128 v[6:9], v28 offset:5040
	v_lshlrev_b64 v[18:19], 4, v[62:63]
	v_add_nc_u32_e32 v62, 0x17a, v58
	ds_read_b128 v[10:13], v28 offset:6048
	ds_read_b128 v[14:17], v28 offset:7056
	v_add_co_u32 v20, vcc_lo, v0, v26
	v_add_co_ci_u32_e32 v21, vcc_lo, v1, v27, vcc_lo
	v_lshlrev_b64 v[22:23], 4, v[62:63]
	v_add_nc_u32_e32 v62, 0x1b9, v58
	v_add_co_u32 v18, vcc_lo, v0, v18
	v_add_co_ci_u32_e32 v19, vcc_lo, v1, v19, vcc_lo
	v_lshlrev_b64 v[24:25], 4, v[62:63]
	v_add_nc_u32_e32 v62, 0x1f8, v58
	v_add_co_u32 v22, vcc_lo, v0, v22
	v_add_co_ci_u32_e32 v23, vcc_lo, v1, v23, vcc_lo
	s_waitcnt lgkmcnt(3)
	global_store_dwordx4 v[20:21], v[2:5], off
	v_lshlrev_b64 v[2:3], 4, v[62:63]
	v_add_nc_u32_e32 v62, 0x237, v58
	v_add_co_u32 v24, vcc_lo, v0, v24
	v_add_co_ci_u32_e32 v25, vcc_lo, v1, v25, vcc_lo
	v_lshlrev_b64 v[20:21], 4, v[62:63]
	v_add_nc_u32_e32 v62, 0x276, v58
	s_waitcnt lgkmcnt(2)
	global_store_dwordx4 v[18:19], v[6:9], off
	s_waitcnt lgkmcnt(1)
	global_store_dwordx4 v[22:23], v[10:13], off
	;; [unrolled: 2-line block ×3, first 2 shown]
	v_add_co_u32 v18, vcc_lo, v0, v2
	v_add_co_ci_u32_e32 v19, vcc_lo, v1, v3, vcc_lo
	ds_read_b128 v[2:5], v28 offset:8064
	ds_read_b128 v[6:9], v28 offset:9072
	;; [unrolled: 1-line block ×4, first 2 shown]
	v_lshlrev_b64 v[22:23], 4, v[62:63]
	v_add_nc_u32_e32 v62, 0x2b5, v58
	v_add_co_u32 v20, vcc_lo, v0, v20
	v_add_co_ci_u32_e32 v21, vcc_lo, v1, v21, vcc_lo
	v_lshlrev_b64 v[24:25], 4, v[62:63]
	v_add_co_u32 v22, vcc_lo, v0, v22
	v_add_co_ci_u32_e32 v23, vcc_lo, v1, v23, vcc_lo
	v_add_co_u32 v24, vcc_lo, v0, v24
	v_add_co_ci_u32_e32 v25, vcc_lo, v1, v25, vcc_lo
	v_cmp_eq_u32_e32 vcc_lo, 62, v58
	s_waitcnt lgkmcnt(3)
	global_store_dwordx4 v[18:19], v[2:5], off
	s_waitcnt lgkmcnt(2)
	global_store_dwordx4 v[20:21], v[6:9], off
	s_waitcnt lgkmcnt(1)
	global_store_dwordx4 v[22:23], v[10:13], off
	s_waitcnt lgkmcnt(0)
	global_store_dwordx4 v[24:25], v[14:17], off
	s_and_b32 exec_lo, exec_lo, vcc_lo
	s_cbranch_execz .LBB0_24
; %bb.23:
	v_mov_b32_e32 v2, 0
	v_add_co_u32 v0, vcc_lo, 0x2800, v0
	v_add_co_ci_u32_e32 v1, vcc_lo, 0, v1, vcc_lo
	ds_read_b128 v[2:5], v2 offset:12096
	s_waitcnt lgkmcnt(0)
	global_store_dwordx4 v[0:1], v[2:5], off offset:1856
.LBB0_24:
	s_endpgm
	.section	.rodata,"a",@progbits
	.p2align	6, 0x0
	.amdhsa_kernel fft_rtc_back_len756_factors_2_2_3_3_3_7_wgs_63_tpt_63_dp_op_CI_CI_unitstride_sbrr_R2C_dirReg
		.amdhsa_group_segment_fixed_size 0
		.amdhsa_private_segment_fixed_size 0
		.amdhsa_kernarg_size 104
		.amdhsa_user_sgpr_count 6
		.amdhsa_user_sgpr_private_segment_buffer 1
		.amdhsa_user_sgpr_dispatch_ptr 0
		.amdhsa_user_sgpr_queue_ptr 0
		.amdhsa_user_sgpr_kernarg_segment_ptr 1
		.amdhsa_user_sgpr_dispatch_id 0
		.amdhsa_user_sgpr_flat_scratch_init 0
		.amdhsa_user_sgpr_private_segment_size 0
		.amdhsa_wavefront_size32 1
		.amdhsa_uses_dynamic_stack 0
		.amdhsa_system_sgpr_private_segment_wavefront_offset 0
		.amdhsa_system_sgpr_workgroup_id_x 1
		.amdhsa_system_sgpr_workgroup_id_y 0
		.amdhsa_system_sgpr_workgroup_id_z 0
		.amdhsa_system_sgpr_workgroup_info 0
		.amdhsa_system_vgpr_workitem_id 0
		.amdhsa_next_free_vgpr 133
		.amdhsa_next_free_sgpr 28
		.amdhsa_reserve_vcc 1
		.amdhsa_reserve_flat_scratch 0
		.amdhsa_float_round_mode_32 0
		.amdhsa_float_round_mode_16_64 0
		.amdhsa_float_denorm_mode_32 3
		.amdhsa_float_denorm_mode_16_64 3
		.amdhsa_dx10_clamp 1
		.amdhsa_ieee_mode 1
		.amdhsa_fp16_overflow 0
		.amdhsa_workgroup_processor_mode 1
		.amdhsa_memory_ordered 1
		.amdhsa_forward_progress 0
		.amdhsa_shared_vgpr_count 0
		.amdhsa_exception_fp_ieee_invalid_op 0
		.amdhsa_exception_fp_denorm_src 0
		.amdhsa_exception_fp_ieee_div_zero 0
		.amdhsa_exception_fp_ieee_overflow 0
		.amdhsa_exception_fp_ieee_underflow 0
		.amdhsa_exception_fp_ieee_inexact 0
		.amdhsa_exception_int_div_zero 0
	.end_amdhsa_kernel
	.text
.Lfunc_end0:
	.size	fft_rtc_back_len756_factors_2_2_3_3_3_7_wgs_63_tpt_63_dp_op_CI_CI_unitstride_sbrr_R2C_dirReg, .Lfunc_end0-fft_rtc_back_len756_factors_2_2_3_3_3_7_wgs_63_tpt_63_dp_op_CI_CI_unitstride_sbrr_R2C_dirReg
                                        ; -- End function
	.section	.AMDGPU.csdata,"",@progbits
; Kernel info:
; codeLenInByte = 11492
; NumSgprs: 30
; NumVgprs: 133
; ScratchSize: 0
; MemoryBound: 0
; FloatMode: 240
; IeeeMode: 1
; LDSByteSize: 0 bytes/workgroup (compile time only)
; SGPRBlocks: 3
; VGPRBlocks: 16
; NumSGPRsForWavesPerEU: 30
; NumVGPRsForWavesPerEU: 133
; Occupancy: 7
; WaveLimiterHint : 1
; COMPUTE_PGM_RSRC2:SCRATCH_EN: 0
; COMPUTE_PGM_RSRC2:USER_SGPR: 6
; COMPUTE_PGM_RSRC2:TRAP_HANDLER: 0
; COMPUTE_PGM_RSRC2:TGID_X_EN: 1
; COMPUTE_PGM_RSRC2:TGID_Y_EN: 0
; COMPUTE_PGM_RSRC2:TGID_Z_EN: 0
; COMPUTE_PGM_RSRC2:TIDIG_COMP_CNT: 0
	.text
	.p2alignl 6, 3214868480
	.fill 48, 4, 3214868480
	.type	__hip_cuid_9c482fcc7ba90f2e,@object ; @__hip_cuid_9c482fcc7ba90f2e
	.section	.bss,"aw",@nobits
	.globl	__hip_cuid_9c482fcc7ba90f2e
__hip_cuid_9c482fcc7ba90f2e:
	.byte	0                               ; 0x0
	.size	__hip_cuid_9c482fcc7ba90f2e, 1

	.ident	"AMD clang version 19.0.0git (https://github.com/RadeonOpenCompute/llvm-project roc-6.4.0 25133 c7fe45cf4b819c5991fe208aaa96edf142730f1d)"
	.section	".note.GNU-stack","",@progbits
	.addrsig
	.addrsig_sym __hip_cuid_9c482fcc7ba90f2e
	.amdgpu_metadata
---
amdhsa.kernels:
  - .args:
      - .actual_access:  read_only
        .address_space:  global
        .offset:         0
        .size:           8
        .value_kind:     global_buffer
      - .offset:         8
        .size:           8
        .value_kind:     by_value
      - .actual_access:  read_only
        .address_space:  global
        .offset:         16
        .size:           8
        .value_kind:     global_buffer
      - .actual_access:  read_only
        .address_space:  global
        .offset:         24
        .size:           8
        .value_kind:     global_buffer
      - .actual_access:  read_only
        .address_space:  global
        .offset:         32
        .size:           8
        .value_kind:     global_buffer
      - .offset:         40
        .size:           8
        .value_kind:     by_value
      - .actual_access:  read_only
        .address_space:  global
        .offset:         48
        .size:           8
        .value_kind:     global_buffer
      - .actual_access:  read_only
        .address_space:  global
        .offset:         56
        .size:           8
        .value_kind:     global_buffer
      - .offset:         64
        .size:           4
        .value_kind:     by_value
      - .actual_access:  read_only
        .address_space:  global
        .offset:         72
        .size:           8
        .value_kind:     global_buffer
      - .actual_access:  read_only
        .address_space:  global
        .offset:         80
        .size:           8
        .value_kind:     global_buffer
      - .actual_access:  read_only
        .address_space:  global
        .offset:         88
        .size:           8
        .value_kind:     global_buffer
      - .actual_access:  write_only
        .address_space:  global
        .offset:         96
        .size:           8
        .value_kind:     global_buffer
    .group_segment_fixed_size: 0
    .kernarg_segment_align: 8
    .kernarg_segment_size: 104
    .language:       OpenCL C
    .language_version:
      - 2
      - 0
    .max_flat_workgroup_size: 63
    .name:           fft_rtc_back_len756_factors_2_2_3_3_3_7_wgs_63_tpt_63_dp_op_CI_CI_unitstride_sbrr_R2C_dirReg
    .private_segment_fixed_size: 0
    .sgpr_count:     30
    .sgpr_spill_count: 0
    .symbol:         fft_rtc_back_len756_factors_2_2_3_3_3_7_wgs_63_tpt_63_dp_op_CI_CI_unitstride_sbrr_R2C_dirReg.kd
    .uniform_work_group_size: 1
    .uses_dynamic_stack: false
    .vgpr_count:     133
    .vgpr_spill_count: 0
    .wavefront_size: 32
    .workgroup_processor_mode: 1
amdhsa.target:   amdgcn-amd-amdhsa--gfx1030
amdhsa.version:
  - 1
  - 2
...

	.end_amdgpu_metadata
